;; amdgpu-corpus repo=ROCm/rocFFT kind=compiled arch=gfx906 opt=O3
	.text
	.amdgcn_target "amdgcn-amd-amdhsa--gfx906"
	.amdhsa_code_object_version 6
	.protected	fft_rtc_back_len17_factors_17_wgs_120_tpt_1_half_op_CI_CI_sbrc_xy_z_diag ; -- Begin function fft_rtc_back_len17_factors_17_wgs_120_tpt_1_half_op_CI_CI_sbrc_xy_z_diag
	.globl	fft_rtc_back_len17_factors_17_wgs_120_tpt_1_half_op_CI_CI_sbrc_xy_z_diag
	.p2align	8
	.type	fft_rtc_back_len17_factors_17_wgs_120_tpt_1_half_op_CI_CI_sbrc_xy_z_diag,@function
fft_rtc_back_len17_factors_17_wgs_120_tpt_1_half_op_CI_CI_sbrc_xy_z_diag: ; @fft_rtc_back_len17_factors_17_wgs_120_tpt_1_half_op_CI_CI_sbrc_xy_z_diag
; %bb.0:
	s_load_dwordx8 s[8:15], s[4:5], 0x8
	v_mul_u32_u24_e32 v2, 0xf10, v0
	v_lshrrev_b32_e32 v2, 16, v2
	v_mul_lo_u16_e32 v3, 17, v2
	v_sub_u16_e32 v5, v0, v3
	s_waitcnt lgkmcnt(0)
	s_load_dwordx4 s[0:3], s[10:11], 0x8
	s_load_dword s20, s[12:13], 0x10
	s_mov_b32 s26, 0xb8d2
	s_mov_b32 s28, 0xbacd
	;; [unrolled: 1-line block ×3, first 2 shown]
	s_waitcnt lgkmcnt(0)
	s_add_i32 s1, s2, -1
	s_mul_hi_u32 s1, s1, 0x88888889
	s_lshr_b32 s1, s1, 6
	s_add_i32 s1, s1, 1
	s_mul_i32 s1, s1, s0
	v_cvt_f32_u32_e32 v1, s1
	s_sub_i32 s0, 0, s1
	s_movk_i32 s27, 0x3a62
	s_mov_b32 s29, 0xb836
	v_rcp_iflag_f32_e32 v1, v1
	s_movk_i32 s30, 0x3836
	s_movk_i32 s24, 0x35c8
	s_mov_b32 s31, 0xb1e1
	v_mul_f32_e32 v1, 0x4f7ffffe, v1
	v_cvt_u32_f32_e32 v1, v1
	s_mov_b32 s34, 0xbbf7
	s_mov_b32 s33, 0xbbdd
	s_movk_i32 s21, 0x3bb2
	v_readfirstlane_b32 s2, v1
	s_mul_i32 s0, s0, s2
	s_mul_hi_u32 s0, s2, s0
	s_add_i32 s2, s2, s0
	s_mul_hi_u32 s0, s6, s2
	s_mul_i32 s2, s0, s1
	s_sub_i32 s2, s6, s2
	s_add_i32 s3, s0, 1
	s_sub_i32 s7, s2, s1
	s_cmp_ge_u32 s2, s1
	s_cselect_b32 s0, s3, s0
	s_cselect_b32 s2, s7, s2
	s_add_i32 s3, s0, 1
	s_cmp_ge_u32 s2, s1
	s_cselect_b32 s18, s3, s0
	s_mul_i32 s0, s18, s1
	s_sub_i32 s0, s6, s0
	s_mul_hi_u32 s1, s0, 0xf0f0f0f1
	s_lshl_b64 s[22:23], s[8:9], 3
	s_lshr_b32 s1, s1, 4
	s_load_dwordx4 s[8:11], s[12:13], 0x0
	s_mul_i32 s1, s1, 17
	s_sub_i32 s19, s0, s1
	s_add_u32 s0, s12, s22
	s_addc_u32 s1, s13, s23
	s_load_dwordx2 s[6:7], s[0:1], 0x0
	s_waitcnt lgkmcnt(0)
	v_mad_u64_u32 v[3:4], s[0:1], s8, v5, 0
	v_mul_lo_u32 v1, s20, v2
	s_load_dwordx4 s[0:3], s[4:5], 0x58
	v_mov_b32_e32 v2, v4
	v_mad_u64_u32 v[4:5], s[4:5], s9, v5, v[2:3]
	s_mul_i32 s4, s7, s18
	s_mul_hi_u32 s5, s6, s18
	s_add_i32 s17, s5, s4
	s_add_u32 s4, s14, s22
	s_addc_u32 s5, s15, s23
	s_load_dwordx2 s[12:13], s[4:5], 0x0
	s_mul_i32 s16, s6, s18
	s_load_dwordx4 s[4:7], s[14:15], 0x0
	v_add_u32_e32 v5, 0x78, v0
	s_lshl_b64 s[16:17], s[16:17], 2
	s_waitcnt lgkmcnt(0)
	s_mul_i32 s7, s13, s18
	s_mul_hi_u32 s13, s12, s18
	s_add_i32 s13, s13, s7
	v_mul_u32_u24_e32 v6, 0xf10, v5
	s_mov_b32 s11, 0
	s_mul_i32 s10, s19, s10
	s_add_u32 s7, s0, s16
	v_lshrrev_b32_e32 v8, 16, v6
	s_addc_u32 s16, s1, s17
	s_lshl_b64 s[0:1], s[10:11], 2
	v_mul_lo_u16_e32 v6, 17, v8
	s_add_u32 s0, s7, s0
	v_sub_u16_e32 v9, v5, v6
	s_addc_u32 s1, s16, s1
	v_mad_u64_u32 v[5:6], s[16:17], s8, v9, 0
	v_lshlrev_b64 v[3:4], 2, v[3:4]
	v_mov_b32_e32 v2, 0
	v_mov_b32_e32 v7, s1
	v_add_co_u32_e32 v10, vcc, s0, v3
	v_addc_co_u32_e32 v11, vcc, v7, v4, vcc
	v_lshlrev_b64 v[3:4], 2, v[1:2]
	v_mov_b32_e32 v1, v6
	v_mad_u64_u32 v[6:7], s[16:17], s9, v9, v[1:2]
	v_add_u32_e32 v7, 0xf0, v0
	v_mul_lo_u32 v1, s20, v8
	v_mul_u32_u24_e32 v8, 0xf10, v7
	v_add_co_u32_e32 v3, vcc, v10, v3
	v_lshrrev_b32_e32 v10, 16, v8
	v_mul_lo_u16_e32 v8, 17, v10
	v_addc_co_u32_e32 v4, vcc, v11, v4, vcc
	v_sub_u16_e32 v11, v7, v8
	v_mad_u64_u32 v[7:8], s[16:17], s8, v11, 0
	v_lshlrev_b64 v[5:6], 2, v[5:6]
	v_mov_b32_e32 v9, s1
	v_add_co_u32_e32 v12, vcc, s0, v5
	v_addc_co_u32_e32 v13, vcc, v9, v6, vcc
	v_lshlrev_b64 v[5:6], 2, v[1:2]
	v_mov_b32_e32 v1, v8
	v_mad_u64_u32 v[8:9], s[16:17], s9, v11, v[1:2]
	v_add_u32_e32 v9, 0x168, v0
	v_mul_lo_u32 v1, s20, v10
	v_mul_u32_u24_e32 v10, 0xf10, v9
	v_add_co_u32_e32 v5, vcc, v12, v5
	v_lshrrev_b32_e32 v12, 16, v10
	v_mul_lo_u16_e32 v10, 17, v12
	v_addc_co_u32_e32 v6, vcc, v13, v6, vcc
	v_sub_u16_e32 v13, v9, v10
	v_mad_u64_u32 v[9:10], s[16:17], s8, v13, 0
	v_lshlrev_b64 v[7:8], 2, v[7:8]
	;; [unrolled: 16-line block ×6, first 2 shown]
	v_mov_b32_e32 v19, s1
	v_add_co_u32_e32 v22, vcc, s0, v15
	v_addc_co_u32_e32 v23, vcc, v19, v16, vcc
	v_lshlrev_b64 v[15:16], 2, v[1:2]
	v_mov_b32_e32 v1, v18
	v_mad_u64_u32 v[18:19], s[16:17], s9, v21, v[1:2]
	v_add_u32_e32 v19, 0x3c0, v0
	v_mul_lo_u32 v1, s20, v20
	v_mul_u32_u24_e32 v20, 0xf10, v19
	v_add_co_u32_e32 v15, vcc, v22, v15
	v_lshrrev_b32_e32 v22, 16, v20
	v_mul_lo_u16_e32 v20, 17, v22
	v_addc_co_u32_e32 v16, vcc, v23, v16, vcc
	v_lshlrev_b64 v[17:18], 2, v[17:18]
	v_sub_u16_e32 v23, v19, v20
	v_mad_u64_u32 v[19:20], s[16:17], s8, v23, 0
	v_mov_b32_e32 v21, s1
	v_add_co_u32_e32 v24, vcc, s0, v17
	v_addc_co_u32_e32 v25, vcc, v21, v18, vcc
	v_lshlrev_b64 v[17:18], 2, v[1:2]
	v_mov_b32_e32 v1, v20
	v_add_co_u32_e32 v17, vcc, v24, v17
	v_mad_u64_u32 v[20:21], s[16:17], s9, v23, v[1:2]
	v_addc_co_u32_e32 v18, vcc, v25, v18, vcc
	global_load_dword v23, v[3:4], off
	global_load_dword v24, v[5:6], off
	global_load_dword v25, v[7:8], off
	global_load_dword v26, v[9:10], off
	global_load_dword v27, v[11:12], off
	global_load_dword v28, v[13:14], off
	global_load_dword v29, v[15:16], off
	global_load_dword v30, v[17:18], off
	v_add_u32_e32 v5, 0x438, v0
	v_mul_u32_u24_e32 v6, 0xf10, v5
	v_lshrrev_b32_e32 v8, 16, v6
	v_mul_lo_u16_e32 v6, 17, v8
	v_sub_u16_e32 v9, v5, v6
	v_mul_lo_u32 v1, s20, v22
	v_mad_u64_u32 v[5:6], s[16:17], s8, v9, 0
	v_lshlrev_b64 v[3:4], 2, v[19:20]
	v_mov_b32_e32 v7, s1
	v_add_co_u32_e32 v10, vcc, s0, v3
	v_addc_co_u32_e32 v11, vcc, v7, v4, vcc
	v_lshlrev_b64 v[3:4], 2, v[1:2]
	v_mov_b32_e32 v1, v6
	v_mad_u64_u32 v[6:7], s[16:17], s9, v9, v[1:2]
	v_add_u32_e32 v7, 0x4b0, v0
	v_mul_lo_u32 v1, s20, v8
	v_mul_u32_u24_e32 v8, 0xf10, v7
	v_add_co_u32_e32 v3, vcc, v10, v3
	v_lshrrev_b32_e32 v10, 16, v8
	v_mul_lo_u16_e32 v8, 17, v10
	v_addc_co_u32_e32 v4, vcc, v11, v4, vcc
	v_sub_u16_e32 v11, v7, v8
	v_mad_u64_u32 v[7:8], s[16:17], s8, v11, 0
	v_lshlrev_b64 v[5:6], 2, v[5:6]
	v_mov_b32_e32 v9, s1
	v_add_co_u32_e32 v12, vcc, s0, v5
	v_addc_co_u32_e32 v13, vcc, v9, v6, vcc
	v_lshlrev_b64 v[5:6], 2, v[1:2]
	v_mov_b32_e32 v1, v8
	v_mad_u64_u32 v[8:9], s[16:17], s9, v11, v[1:2]
	v_add_u32_e32 v9, 0x528, v0
	v_mul_lo_u32 v1, s20, v10
	v_mul_u32_u24_e32 v10, 0xf10, v9
	v_add_co_u32_e32 v5, vcc, v12, v5
	v_lshrrev_b32_e32 v12, 16, v10
	v_mul_lo_u16_e32 v10, 17, v12
	v_addc_co_u32_e32 v6, vcc, v13, v6, vcc
	v_sub_u16_e32 v13, v9, v10
	;; [unrolled: 16-line block ×6, first 2 shown]
	v_mad_u64_u32 v[17:18], s[16:17], s8, v21, 0
	v_lshlrev_b64 v[15:16], 2, v[15:16]
	v_mov_b32_e32 v19, s1
	v_add_co_u32_e32 v22, vcc, s0, v15
	v_addc_co_u32_e32 v31, vcc, v19, v16, vcc
	v_lshlrev_b64 v[15:16], 2, v[1:2]
	v_mov_b32_e32 v1, v18
	v_mad_u64_u32 v[18:19], s[16:17], s9, v21, v[1:2]
	v_or_b32_e32 v19, 0x780, v0
	v_mul_lo_u32 v1, s20, v20
	v_mul_u32_u24_e32 v20, 0xf10, v19
	v_add_co_u32_e32 v15, vcc, v22, v15
	v_lshrrev_b32_e32 v22, 16, v20
	v_mul_lo_u16_e32 v20, 17, v22
	v_addc_co_u32_e32 v16, vcc, v31, v16, vcc
	v_sub_u16_e32 v31, v19, v20
	v_mad_u64_u32 v[19:20], s[16:17], s8, v31, 0
	v_lshlrev_b64 v[17:18], 2, v[17:18]
	v_mov_b32_e32 v21, s1
	v_add_co_u32_e32 v32, vcc, s0, v17
	v_addc_co_u32_e32 v33, vcc, v21, v18, vcc
	v_lshlrev_b64 v[17:18], 2, v[1:2]
	v_mov_b32_e32 v1, v20
	v_mad_u64_u32 v[20:21], s[8:9], s9, v31, v[1:2]
	v_add_co_u32_e32 v17, vcc, v32, v17
	v_mul_lo_u32 v1, s20, v22
	v_addc_co_u32_e32 v18, vcc, v33, v18, vcc
	global_load_dword v21, v[3:4], off
	global_load_dword v31, v[5:6], off
	;; [unrolled: 1-line block ×8, first 2 shown]
	v_lshlrev_b64 v[3:4], 2, v[19:20]
	v_mov_b32_e32 v5, s1
	v_add_co_u32_e32 v6, vcc, s0, v3
	v_addc_co_u32_e32 v5, vcc, v5, v4, vcc
	v_lshlrev_b64 v[3:4], 2, v[1:2]
	s_load_dword s0, s[14:15], 0x10
	v_add_co_u32_e32 v3, vcc, v6, v3
	v_addc_co_u32_e32 v4, vcc, v5, v4, vcc
	global_load_dword v1, v[3:4], off
	v_mul_u32_u24_e32 v3, 0x223, v0
	v_lshrrev_b32_e32 v11, 16, v3
	v_mul_lo_u16_e32 v3, 0x78, v11
	v_sub_u16_e32 v12, v0, v3
	v_lshl_add_u32 v0, v0, 2, 0
	v_add_u32_e32 v4, 0x200, v0
	s_waitcnt vmcnt(13)
	ds_write2_b32 v4, v25, v26 offset0:112 offset1:232
	v_add_u32_e32 v4, 0x600, v0
	s_waitcnt vmcnt(11)
	ds_write2_b32 v4, v27, v28 offset0:96 offset1:216
	;; [unrolled: 3-line block ×3, first 2 shown]
	v_add_u32_e32 v4, 0xe00, v0
	v_mul_lo_u16_e32 v3, 17, v12
	v_lshlrev_b32_e32 v13, 2, v3
	v_add_u32_e32 v14, 0, v13
	ds_write2_b32 v0, v23, v24 offset1:120
	s_movk_i32 s23, 0x3b76
	s_movk_i32 s17, 0x39e9
	;; [unrolled: 1-line block ×4, first 2 shown]
	s_mov_b32 s15, 0xb461
	s_mov_b32 s22, 0xb5c8
	;; [unrolled: 1-line block ×3, first 2 shown]
	s_movk_i32 s20, 0x3964
	s_mov_b32 s8, 0xbb29
	s_movk_i32 s10, 0x3b29
	s_movk_i32 s7, 0x3bf7
	s_mov_b32 s14, 0xbbb2
	s_movk_i32 s35, 0x31e1
	s_mul_i32 s12, s12, s18
	s_waitcnt vmcnt(7)
	ds_write2_b32 v4, v21, v31 offset0:64 offset1:184
	v_add_u32_e32 v4, 0x1200, v0
	s_waitcnt vmcnt(5)
	ds_write2_b32 v4, v32, v33 offset0:48 offset1:168
	v_add_u32_e32 v4, 0x1600, v0
	;; [unrolled: 3-line block ×3, first 2 shown]
	s_waitcnt vmcnt(1)
	ds_write2_b32 v4, v36, v37 offset0:16 offset1:136
	s_waitcnt vmcnt(0)
	ds_write_b32 v0, v1 offset:7680
	s_waitcnt lgkmcnt(0)
	s_barrier
	ds_read2_b32 v[48:49], v14 offset0:1 offset1:2
	ds_read_b32 v15, v14 offset:64
	ds_read2_b32 v[52:53], v14 offset0:3 offset1:4
	ds_read2_b32 v[7:8], v14 offset0:5 offset1:6
	;; [unrolled: 1-line block ×3, first 2 shown]
	s_waitcnt lgkmcnt(4)
	v_alignbit_b32 v3, v48, v48, 16
	s_waitcnt lgkmcnt(3)
	v_pk_add_f16 v5, v15, v3 op_sel:[1,0] op_sel_hi:[0,1]
	v_pk_add_f16 v6, v3, v15 op_sel:[0,1] op_sel_hi:[1,0] neg_lo:[0,1] neg_hi:[0,1]
	v_lshrrev_b32_e32 v3, 16, v5
	v_mul_f16_e32 v4, 0xb5c8, v6
	v_fma_f16 v18, v3, s23, v4
	v_fma_f16 v20, v3, s23, -v4
	v_mul_f16_e32 v4, 0xb964, v6
	v_fma_f16 v22, v3, s17, v4
	v_fma_f16 v24, v3, s17, -v4
	;; [unrolled: 3-line block ×6, first 2 shown]
	v_mul_f16_e32 v4, 0xb836, v6
	v_lshrrev_b32_e32 v10, 16, v6
	v_fma_f16 v41, v3, s28, v4
	v_fma_f16 v39, v3, s28, -v4
	v_mul_f16_e32 v3, 0xb8d2, v5
	v_fma_f16 v43, v10, s27, v3
	v_fma_f16 v42, v10, s25, v3
	v_mul_f16_e32 v3, 0xbacd, v5
	v_fma_f16 v45, v10, s30, v3
	v_fma_f16 v44, v10, s29, v3
	ds_read2_b32 v[3:4], v14 offset1:7
	v_mul_f16_e32 v9, 0x3b76, v5
	v_fma_f16 v19, v10, s24, v9
	v_fma_f16 v21, v10, s22, v9
	v_mul_f16_e32 v9, 0x39e9, v5
	ds_read2_b32 v[50:51], v14 offset0:14 offset1:15
	v_fma_f16 v23, v10, s20, v9
	v_fma_f16 v25, v10, s16, v9
	v_mul_f16_e32 v9, 0x3722, v5
	v_fma_f16 v27, v10, s10, v9
	v_fma_f16 v29, v10, s8, v9
	v_mul_f16_e32 v9, 0x2de8, v5
	v_pk_mul_f16 v6, v6, s31 op_sel_hi:[1,0]
	v_fma_f16 v31, v10, s7, v9
	v_fma_f16 v33, v10, s34, v9
	v_mul_f16_e32 v9, 0xb461, v5
	v_pk_fma_f16 v46, v5, s33, v6 op_sel:[0,0,1] op_sel_hi:[1,0,0]
	v_pk_fma_f16 v47, v5, s33, v6 op_sel:[0,0,1] op_sel_hi:[1,0,0] neg_lo:[0,0,1] neg_hi:[0,0,1]
	s_waitcnt lgkmcnt(1)
	v_add_f16_e32 v5, v48, v3
	v_add_f16_e32 v54, v5, v49
	v_add_f16_sdwa v5, v48, v3 dst_sel:DWORD dst_unused:UNUSED_PAD src0_sel:WORD_1 src1_sel:WORD_1
	v_add_f16_sdwa v48, v5, v49 dst_sel:DWORD dst_unused:UNUSED_PAD src0_sel:DWORD src1_sel:WORD_1
	s_waitcnt lgkmcnt(0)
	v_pk_add_f16 v17, v51, v49
	v_pk_add_f16 v16, v49, v51 neg_lo:[0,1] neg_hi:[0,1]
	v_add_f16_e32 v49, v54, v52
	v_add_f16_sdwa v48, v48, v52 dst_sel:DWORD dst_unused:UNUSED_PAD src0_sel:DWORD src1_sel:WORD_1
	v_add_f16_e32 v49, v49, v53
	v_add_f16_sdwa v48, v48, v53 dst_sel:DWORD dst_unused:UNUSED_PAD src0_sel:DWORD src1_sel:WORD_1
	;; [unrolled: 2-line block ×3, first 2 shown]
	v_fma_f16 v35, v10, s21, v9
	v_fma_f16 v37, v10, s14, v9
	ds_read2_b32 v[5:6], v14 offset0:10 offset1:11
	ds_read2_b32 v[9:10], v14 offset0:12 offset1:13
	v_add_f16_e32 v49, v49, v8
	v_add_f16_sdwa v48, v48, v8 dst_sel:DWORD dst_unused:UNUSED_PAD src0_sel:DWORD src1_sel:WORD_1
	v_add_f16_e32 v49, v49, v4
	v_add_f16_sdwa v48, v48, v4 dst_sel:DWORD dst_unused:UNUSED_PAD src0_sel:DWORD src1_sel:WORD_1
	;; [unrolled: 2-line block ×4, first 2 shown]
	s_waitcnt lgkmcnt(1)
	v_add_f16_e32 v49, v49, v5
	v_add_f16_sdwa v48, v48, v5 dst_sel:DWORD dst_unused:UNUSED_PAD src0_sel:DWORD src1_sel:WORD_1
	v_add_f16_e32 v49, v49, v6
	v_add_f16_sdwa v48, v48, v6 dst_sel:DWORD dst_unused:UNUSED_PAD src0_sel:DWORD src1_sel:WORD_1
	s_waitcnt lgkmcnt(0)
	v_add_f16_e32 v49, v49, v9
	v_add_f16_sdwa v48, v48, v9 dst_sel:DWORD dst_unused:UNUSED_PAD src0_sel:DWORD src1_sel:WORD_1
	v_add_f16_e32 v49, v49, v10
	v_add_f16_sdwa v48, v48, v10 dst_sel:DWORD dst_unused:UNUSED_PAD src0_sel:DWORD src1_sel:WORD_1
	;; [unrolled: 2-line block ×4, first 2 shown]
	v_pk_add_f16 v51, v50, v52
	v_pk_add_f16 v50, v52, v50 neg_lo:[0,1] neg_hi:[0,1]
	v_pk_add_f16 v52, v10, v53
	v_pk_add_f16 v10, v53, v10 neg_lo:[0,1] neg_hi:[0,1]
	;; [unrolled: 2-line block ×5, first 2 shown]
	v_add_f16_e32 v5, v18, v3
	v_add_f16_sdwa v18, v19, v3 dst_sel:DWORD dst_unused:UNUSED_PAD src0_sel:DWORD src1_sel:WORD_1
	v_add_f16_e32 v19, v20, v3
	v_add_f16_sdwa v20, v21, v3 dst_sel:DWORD dst_unused:UNUSED_PAD src0_sel:DWORD src1_sel:WORD_1
	;; [unrolled: 2-line block ×14, first 2 shown]
	v_pk_add_f16 v45, v46, v3 op_sel:[0,1] op_sel_hi:[1,0]
	v_pk_add_f16 v46, v47, v3 op_sel:[0,1] op_sel_hi:[1,0]
	v_add_f16_e32 v3, v48, v15
	v_add_f16_sdwa v15, v49, v15 dst_sel:WORD_1 dst_unused:UNUSED_PAD src0_sel:DWORD src1_sel:WORD_1
	v_or_b32_e32 v3, v15, v3
	v_mul_f16_sdwa v15, v16, s16 dst_sel:DWORD dst_unused:UNUSED_PAD src0_sel:WORD_1 src1_sel:DWORD
	v_fma_f16 v47, v17, s17, v15
	v_add_f16_e32 v5, v47, v5
	v_mul_f16_sdwa v47, v17, s17 dst_sel:DWORD dst_unused:UNUSED_PAD src0_sel:WORD_1 src1_sel:DWORD
	v_fma_f16 v15, v17, s17, -v15
	v_add_f16_e32 v15, v15, v19
	v_fma_f16 v19, v16, s16, v47
	v_add_f16_e32 v19, v19, v20
	v_mul_f16_sdwa v20, v16, s34 dst_sel:DWORD dst_unused:UNUSED_PAD src0_sel:WORD_1 src1_sel:DWORD
	v_fma_f16 v48, v16, s20, v47
	v_fma_f16 v47, v17, s1, v20
	v_add_f16_e32 v21, v47, v21
	v_mul_f16_sdwa v47, v17, s1 dst_sel:DWORD dst_unused:UNUSED_PAD src0_sel:WORD_1 src1_sel:DWORD
	v_fma_f16 v20, v17, s1, -v20
	v_add_f16_e32 v20, v20, v23
	v_fma_f16 v23, v16, s34, v47
	v_add_f16_e32 v23, v23, v24
	v_mul_f16_sdwa v24, v16, s25 dst_sel:DWORD dst_unused:UNUSED_PAD src0_sel:WORD_1 src1_sel:DWORD
	v_add_f16_e32 v18, v48, v18
	v_fma_f16 v48, v16, s7, v47
	v_fma_f16 v47, v17, s26, v24
	v_add_f16_e32 v25, v47, v25
	v_mul_f16_sdwa v47, v17, s26 dst_sel:DWORD dst_unused:UNUSED_PAD src0_sel:WORD_1 src1_sel:DWORD
	v_fma_f16 v24, v17, s26, -v24
	v_add_f16_e32 v24, v24, v27
	v_fma_f16 v27, v16, s25, v47
	v_add_f16_e32 v27, v27, v28
	v_mul_f16_sdwa v28, v16, s31 dst_sel:DWORD dst_unused:UNUSED_PAD src0_sel:WORD_1 src1_sel:DWORD
	v_add_f16_e32 v22, v48, v22
	;; [unrolled: 10-line block ×5, first 2 shown]
	v_fma_f16 v48, v16, s14, v47
	v_fma_f16 v47, v17, s9, v42
	v_add_f16_e32 v41, v47, v41
	v_mul_f16_sdwa v47, v17, s9 dst_sel:DWORD dst_unused:UNUSED_PAD src0_sel:WORD_1 src1_sel:DWORD
	v_fma_f16 v42, v17, s9, -v42
	v_add_f16_e32 v39, v42, v39
	v_fma_f16 v42, v16, s10, v47
	v_pk_mul_f16 v17, v17, s23 op_sel_hi:[1,0]
	v_add_f16_e32 v40, v48, v40
	v_fma_f16 v48, v16, s8, v47
	v_add_f16_e32 v42, v42, v44
	v_pk_fma_f16 v44, v16, s24, v17 op_sel:[0,0,1] op_sel_hi:[1,0,0]
	v_pk_fma_f16 v16, v16, s24, v17 op_sel:[0,0,1] op_sel_hi:[1,0,0] neg_lo:[1,0,0] neg_hi:[1,0,0]
	v_mul_f16_sdwa v17, v50, s8 dst_sel:DWORD dst_unused:UNUSED_PAD src0_sel:WORD_1 src1_sel:DWORD
	v_pk_add_f16 v44, v44, v45
	v_fma_f16 v45, v51, s9, v17
	v_add_f16_e32 v5, v45, v5
	v_mul_f16_sdwa v45, v51, s9 dst_sel:DWORD dst_unused:UNUSED_PAD src0_sel:WORD_1 src1_sel:DWORD
	v_fma_f16 v17, v51, s9, -v17
	v_add_f16_e32 v15, v17, v15
	v_fma_f16 v17, v50, s8, v45
	v_add_f16_e32 v17, v17, v19
	v_mul_f16_sdwa v19, v50, s25 dst_sel:DWORD dst_unused:UNUSED_PAD src0_sel:WORD_1 src1_sel:DWORD
	v_pk_add_f16 v16, v16, v46
	v_fma_f16 v46, v50, s10, v45
	v_fma_f16 v45, v51, s26, v19
	v_add_f16_e32 v21, v45, v21
	v_mul_f16_sdwa v45, v51, s26 dst_sel:DWORD dst_unused:UNUSED_PAD src0_sel:WORD_1 src1_sel:DWORD
	v_fma_f16 v19, v51, s26, -v19
	v_add_f16_e32 v19, v19, v20
	v_fma_f16 v20, v50, s25, v45
	v_add_f16_e32 v20, v20, v23
	v_mul_f16_sdwa v23, v50, s35 dst_sel:DWORD dst_unused:UNUSED_PAD src0_sel:WORD_1 src1_sel:DWORD
	v_add_f16_e32 v18, v46, v18
	v_fma_f16 v46, v50, s27, v45
	v_fma_f16 v45, v51, s33, v23
	v_add_f16_e32 v25, v45, v25
	v_mul_f16_sdwa v45, v51, s33 dst_sel:DWORD dst_unused:UNUSED_PAD src0_sel:WORD_1 src1_sel:DWORD
	v_fma_f16 v23, v51, s33, -v23
	v_add_f16_e32 v23, v23, v24
	v_fma_f16 v24, v50, s35, v45
	v_add_f16_e32 v24, v24, v27
	v_mul_f16_sdwa v27, v50, s21 dst_sel:DWORD dst_unused:UNUSED_PAD src0_sel:WORD_1 src1_sel:DWORD
	v_add_f16_e32 v22, v46, v22
	;; [unrolled: 10-line block ×5, first 2 shown]
	v_fma_f16 v46, v50, s24, v45
	v_fma_f16 v45, v51, s1, v38
	v_add_f16_e32 v41, v45, v41
	v_mul_f16_sdwa v45, v51, s1 dst_sel:DWORD dst_unused:UNUSED_PAD src0_sel:WORD_1 src1_sel:DWORD
	v_fma_f16 v38, v51, s1, -v38
	v_add_f16_e32 v38, v38, v39
	v_fma_f16 v39, v50, s34, v45
	v_add_f16_e32 v39, v39, v42
	v_pk_mul_f16 v42, v51, s28 op_sel_hi:[1,0]
	v_add_f16_e32 v40, v46, v40
	v_fma_f16 v46, v50, s7, v45
	v_pk_fma_f16 v45, v50, s29, v42 op_sel:[0,0,1] op_sel_hi:[1,0,0]
	v_pk_fma_f16 v42, v50, s29, v42 op_sel:[0,0,1] op_sel_hi:[1,0,0] neg_lo:[1,0,0] neg_hi:[1,0,0]
	v_pk_add_f16 v16, v42, v16
	v_mul_f16_sdwa v42, v10, s34 dst_sel:DWORD dst_unused:UNUSED_PAD src0_sel:WORD_1 src1_sel:DWORD
	v_pk_add_f16 v44, v45, v44
	v_fma_f16 v45, v52, s1, v42
	v_add_f16_e32 v5, v45, v5
	v_mul_f16_sdwa v45, v52, s1 dst_sel:DWORD dst_unused:UNUSED_PAD src0_sel:WORD_1 src1_sel:DWORD
	v_fma_f16 v42, v52, s1, -v42
	v_add_f16_e32 v15, v42, v15
	v_fma_f16 v42, v10, s34, v45
	v_add_f16_e32 v43, v48, v43
	v_add_f16_e32 v17, v42, v17
	v_mul_f16_sdwa v42, v10, s31 dst_sel:DWORD dst_unused:UNUSED_PAD src0_sel:WORD_1 src1_sel:DWORD
	v_add_f16_e32 v43, v46, v43
	v_fma_f16 v46, v10, s7, v45
	v_fma_f16 v45, v52, s33, v42
	v_add_f16_e32 v21, v45, v21
	v_mul_f16_sdwa v45, v52, s33 dst_sel:DWORD dst_unused:UNUSED_PAD src0_sel:WORD_1 src1_sel:DWORD
	v_fma_f16 v42, v52, s33, -v42
	v_add_f16_e32 v19, v42, v19
	v_fma_f16 v42, v10, s31, v45
	v_add_f16_e32 v20, v42, v20
	v_mul_f16_sdwa v42, v10, s21 dst_sel:DWORD dst_unused:UNUSED_PAD src0_sel:WORD_1 src1_sel:DWORD
	v_add_f16_e32 v18, v46, v18
	v_fma_f16 v46, v10, s35, v45
	v_fma_f16 v45, v52, s15, v42
	v_add_f16_e32 v25, v45, v25
	v_mul_f16_sdwa v45, v52, s15 dst_sel:DWORD dst_unused:UNUSED_PAD src0_sel:WORD_1 src1_sel:DWORD
	v_fma_f16 v42, v52, s15, -v42
	v_add_f16_e32 v23, v42, v23
	v_fma_f16 v42, v10, s21, v45
	;; [unrolled: 10-line block ×6, first 2 shown]
	v_add_f16_e32 v39, v42, v39
	v_pk_mul_f16 v42, v52, s17 op_sel_hi:[1,0]
	v_add_f16_e32 v40, v46, v40
	v_fma_f16 v46, v10, s25, v45
	v_pk_fma_f16 v45, v10, s20, v42 op_sel:[0,0,1] op_sel_hi:[1,0,0]
	v_pk_fma_f16 v10, v10, s20, v42 op_sel:[0,0,1] op_sel_hi:[1,0,0] neg_lo:[1,0,0] neg_hi:[1,0,0]
	v_pk_add_f16 v10, v10, v16
	v_mul_f16_sdwa v16, v7, s14 dst_sel:DWORD dst_unused:UNUSED_PAD src0_sel:WORD_1 src1_sel:DWORD
	v_fma_f16 v42, v53, s15, v16
	v_add_f16_e32 v5, v42, v5
	v_mul_f16_sdwa v42, v53, s15 dst_sel:DWORD dst_unused:UNUSED_PAD src0_sel:WORD_1 src1_sel:DWORD
	v_fma_f16 v16, v53, s15, -v16
	v_add_f16_e32 v15, v16, v15
	v_fma_f16 v16, v7, s14, v42
	v_add_f16_e32 v16, v16, v17
	v_mul_f16_sdwa v17, v7, s30 dst_sel:DWORD dst_unused:UNUSED_PAD src0_sel:WORD_1 src1_sel:DWORD
	v_pk_add_f16 v44, v45, v44
	v_fma_f16 v45, v7, s21, v42
	v_fma_f16 v42, v53, s28, v17
	v_add_f16_e32 v21, v42, v21
	v_mul_f16_sdwa v42, v53, s28 dst_sel:DWORD dst_unused:UNUSED_PAD src0_sel:WORD_1 src1_sel:DWORD
	v_fma_f16 v17, v53, s28, -v17
	v_add_f16_e32 v17, v17, v19
	v_fma_f16 v19, v7, s30, v42
	v_add_f16_e32 v19, v19, v20
	v_mul_f16_sdwa v20, v7, s20 dst_sel:DWORD dst_unused:UNUSED_PAD src0_sel:WORD_1 src1_sel:DWORD
	v_add_f16_e32 v18, v45, v18
	v_fma_f16 v45, v7, s29, v42
	v_fma_f16 v42, v53, s17, v20
	v_add_f16_e32 v25, v42, v25
	v_mul_f16_sdwa v42, v53, s17 dst_sel:DWORD dst_unused:UNUSED_PAD src0_sel:WORD_1 src1_sel:DWORD
	v_fma_f16 v20, v53, s17, -v20
	v_add_f16_e32 v20, v20, v23
	v_fma_f16 v23, v7, s20, v42
	v_add_f16_e32 v23, v23, v24
	v_mul_f16_sdwa v24, v7, s8 dst_sel:DWORD dst_unused:UNUSED_PAD src0_sel:WORD_1 src1_sel:DWORD
	v_add_f16_e32 v22, v45, v22
	;; [unrolled: 10-line block ×5, first 2 shown]
	v_fma_f16 v45, v7, s34, v42
	v_fma_f16 v42, v53, s23, v36
	v_add_f16_e32 v41, v42, v41
	v_mul_f16_sdwa v42, v53, s23 dst_sel:DWORD dst_unused:UNUSED_PAD src0_sel:WORD_1 src1_sel:DWORD
	v_fma_f16 v36, v53, s23, -v36
	v_add_f16_e32 v36, v36, v38
	v_fma_f16 v38, v7, s22, v42
	v_add_f16_e32 v38, v38, v39
	v_pk_mul_f16 v39, v53, s26 op_sel_hi:[1,0]
	v_add_f16_e32 v40, v45, v40
	v_fma_f16 v45, v7, s24, v42
	v_pk_fma_f16 v42, v7, s25, v39 op_sel:[0,0,1] op_sel_hi:[1,0,0]
	v_pk_fma_f16 v7, v7, s25, v39 op_sel:[0,0,1] op_sel_hi:[1,0,0] neg_lo:[1,0,0] neg_hi:[1,0,0]
	v_pk_add_f16 v7, v7, v10
	v_mul_f16_sdwa v10, v8, s25 dst_sel:DWORD dst_unused:UNUSED_PAD src0_sel:WORD_1 src1_sel:DWORD
	v_fma_f16 v39, v9, s26, v10
	v_add_f16_e32 v5, v39, v5
	v_mul_f16_sdwa v39, v9, s26 dst_sel:DWORD dst_unused:UNUSED_PAD src0_sel:WORD_1 src1_sel:DWORD
	v_fma_f16 v10, v9, s26, -v10
	v_add_f16_e32 v10, v10, v15
	v_fma_f16 v15, v8, s25, v39
	v_add_f16_e32 v15, v15, v16
	v_mul_f16_sdwa v16, v8, s21 dst_sel:DWORD dst_unused:UNUSED_PAD src0_sel:WORD_1 src1_sel:DWORD
	v_pk_add_f16 v42, v42, v44
	v_fma_f16 v44, v8, s27, v39
	v_fma_f16 v39, v9, s15, v16
	v_add_f16_e32 v21, v39, v21
	v_mul_f16_sdwa v39, v9, s15 dst_sel:DWORD dst_unused:UNUSED_PAD src0_sel:WORD_1 src1_sel:DWORD
	v_fma_f16 v16, v9, s15, -v16
	v_add_f16_e32 v16, v16, v17
	v_fma_f16 v17, v8, s21, v39
	v_add_f16_e32 v17, v17, v19
	v_mul_f16_sdwa v19, v8, s22 dst_sel:DWORD dst_unused:UNUSED_PAD src0_sel:WORD_1 src1_sel:DWORD
	v_add_f16_e32 v18, v44, v18
	v_fma_f16 v44, v8, s14, v39
	v_fma_f16 v39, v9, s23, v19
	v_add_f16_e32 v25, v39, v25
	v_mul_f16_sdwa v39, v9, s23 dst_sel:DWORD dst_unused:UNUSED_PAD src0_sel:WORD_1 src1_sel:DWORD
	v_fma_f16 v19, v9, s23, -v19
	v_add_f16_e32 v19, v19, v20
	v_fma_f16 v20, v8, s22, v39
	v_add_f16_e32 v20, v20, v23
	v_mul_f16_sdwa v23, v8, s29 dst_sel:DWORD dst_unused:UNUSED_PAD src0_sel:WORD_1 src1_sel:DWORD
	v_add_f16_e32 v22, v44, v22
	;; [unrolled: 10-line block ×5, first 2 shown]
	v_fma_f16 v44, v8, s20, v39
	v_fma_f16 v39, v9, s33, v35
	v_add_f16_e32 v39, v39, v41
	v_mul_f16_sdwa v41, v9, s33 dst_sel:DWORD dst_unused:UNUSED_PAD src0_sel:WORD_1 src1_sel:DWORD
	v_fma_f16 v35, v9, s33, -v35
	v_add_f16_e32 v35, v35, v36
	v_fma_f16 v36, v8, s31, v41
	v_pk_mul_f16 v9, v9, s9 op_sel_hi:[1,0]
	v_add_f16_e32 v40, v44, v40
	v_fma_f16 v44, v8, s35, v41
	v_add_f16_e32 v36, v36, v38
	v_pk_fma_f16 v38, v8, s10, v9 op_sel:[0,0,1] op_sel_hi:[1,0,0]
	v_pk_fma_f16 v8, v8, s10, v9 op_sel:[0,0,1] op_sel_hi:[1,0,0] neg_lo:[1,0,0] neg_hi:[1,0,0]
	v_pk_add_f16 v7, v8, v7
	v_mul_f16_sdwa v8, v4, s29 dst_sel:DWORD dst_unused:UNUSED_PAD src0_sel:WORD_1 src1_sel:DWORD
	v_fma_f16 v9, v6, s28, v8
	v_add_f16_e32 v5, v9, v5
	v_mul_f16_sdwa v9, v6, s28 dst_sel:DWORD dst_unused:UNUSED_PAD src0_sel:WORD_1 src1_sel:DWORD
	v_fma_f16 v8, v6, s28, -v8
	v_fma_f16 v41, v4, s30, v9
	v_add_f16_e32 v8, v8, v10
	v_fma_f16 v9, v4, s29, v9
	v_mul_f16_sdwa v10, v4, s10 dst_sel:DWORD dst_unused:UNUSED_PAD src0_sel:WORD_1 src1_sel:DWORD
	v_add_f16_e32 v9, v9, v15
	v_fma_f16 v15, v6, s9, v10
	v_add_f16_e32 v15, v15, v21
	v_mul_f16_sdwa v21, v6, s9 dst_sel:DWORD dst_unused:UNUSED_PAD src0_sel:WORD_1 src1_sel:DWORD
	v_fma_f16 v10, v6, s9, -v10
	v_add_f16_e32 v10, v10, v16
	v_fma_f16 v16, v4, s10, v21
	v_add_f16_e32 v16, v16, v17
	v_mul_f16_sdwa v17, v4, s34 dst_sel:DWORD dst_unused:UNUSED_PAD src0_sel:WORD_1 src1_sel:DWORD
	v_add_f16_e32 v18, v41, v18
	v_fma_f16 v41, v4, s8, v21
	v_fma_f16 v21, v6, s1, v17
	v_add_f16_e32 v21, v21, v25
	v_mul_f16_sdwa v25, v6, s1 dst_sel:DWORD dst_unused:UNUSED_PAD src0_sel:WORD_1 src1_sel:DWORD
	v_fma_f16 v17, v6, s1, -v17
	v_add_f16_e32 v17, v17, v19
	v_fma_f16 v19, v4, s34, v25
	v_add_f16_e32 v19, v19, v20
	v_mul_f16_sdwa v20, v4, s27 dst_sel:DWORD dst_unused:UNUSED_PAD src0_sel:WORD_1 src1_sel:DWORD
	v_add_f16_e32 v22, v41, v22
	v_fma_f16 v41, v4, s7, v25
	;; [unrolled: 10-line block ×5, first 2 shown]
	v_fma_f16 v37, v6, s17, v32
	v_add_f16_e32 v37, v37, v39
	v_mul_f16_sdwa v39, v6, s17 dst_sel:DWORD dst_unused:UNUSED_PAD src0_sel:WORD_1 src1_sel:DWORD
	v_fma_f16 v32, v6, s17, -v32
	v_add_f16_e32 v32, v32, v35
	v_fma_f16 v35, v4, s20, v39
	v_pk_mul_f16 v6, v6, s15 op_sel_hi:[1,0]
	v_add_f16_e32 v43, v46, v43
	v_pk_add_f16 v38, v38, v42
	v_add_f16_e32 v40, v41, v40
	v_fma_f16 v41, v4, s16, v39
	v_add_f16_e32 v35, v35, v36
	v_pk_fma_f16 v36, v4, s14, v6 op_sel:[0,0,1] op_sel_hi:[1,0,0]
	v_pk_fma_f16 v4, v4, s14, v6 op_sel:[0,0,1] op_sel_hi:[1,0,0] neg_lo:[1,0,0] neg_hi:[1,0,0]
	v_add_f16_e32 v43, v45, v43
	v_pk_add_f16 v36, v36, v38
	v_pk_add_f16 v38, v4, v7
	v_alignbit_b32 v4, v1, v0, 16
	v_alignbit_b32 v6, v0, v1, 16
	v_add_f16_e32 v43, v44, v43
	v_pk_add_f16 v39, v4, v6
	v_pk_add_f16 v42, v0, v1 neg_lo:[0,1] neg_hi:[0,1]
	v_add_f16_e32 v41, v41, v43
	v_lshrrev_b32_e32 v43, 16, v39
	v_mul_f16_sdwa v0, v42, s31 dst_sel:DWORD dst_unused:UNUSED_PAD src0_sel:WORD_1 src1_sel:DWORD
	v_fma_f16 v1, v43, s33, v0
	v_add_f16_e32 v44, v1, v5
	v_mul_f16_e32 v1, 0xbbdd, v39
	v_fma_f16 v4, v42, s35, v1
	v_add_f16_e32 v45, v4, v18
	v_mul_f16_sdwa v4, v42, s24 dst_sel:DWORD dst_unused:UNUSED_PAD src0_sel:WORD_1 src1_sel:DWORD
	v_fma_f16 v5, v43, s23, v4
	v_add_f16_e32 v46, v5, v15
	v_mul_f16_e32 v5, 0x3b76, v39
	v_fma_f16 v6, v42, s22, v5
	v_add_f16_e32 v47, v6, v22
	v_mul_f16_sdwa v6, v42, s29 dst_sel:DWORD dst_unused:UNUSED_PAD src0_sel:WORD_1 src1_sel:DWORD
	v_fma_f16 v7, v43, s28, v6
	v_fma_f16 v0, v43, s33, -v0
	v_add_f16_e32 v48, v7, v21
	v_mul_f16_e32 v7, 0xbacd, v39
	v_add_f16_e32 v0, v0, v8
	v_fma_f16 v8, v42, s30, v7
	v_fma_f16 v1, v42, s31, v1
	v_add_f16_e32 v49, v8, v26
	v_mul_f16_sdwa v8, v42, s20 dst_sel:DWORD dst_unused:UNUSED_PAD src0_sel:WORD_1 src1_sel:DWORD
	v_add_f16_e32 v1, v1, v9
	v_fma_f16 v9, v43, s17, v8
	v_fma_f16 v4, v43, s23, -v4
	v_add_f16_e32 v50, v9, v25
	v_mul_f16_e32 v9, 0x39e9, v39
	v_add_f16_e32 v4, v4, v10
	v_fma_f16 v10, v42, s16, v9
	v_fma_f16 v7, v42, s29, v7
	v_add_f16_e32 v30, v10, v30
	v_mul_f16_sdwa v10, v42, s25 dst_sel:DWORD dst_unused:UNUSED_PAD src0_sel:WORD_1 src1_sel:DWORD
	v_mul_f16_sdwa v18, v42, s10 dst_sel:DWORD dst_unused:UNUSED_PAD src0_sel:WORD_1 src1_sel:DWORD
	v_fma_f16 v5, v42, s24, v5
	v_add_f16_e32 v7, v7, v19
	v_fma_f16 v8, v43, s17, -v8
	v_fma_f16 v15, v43, s26, v10
	v_fma_f16 v19, v43, s9, v18
	v_add_f16_e32 v5, v5, v16
	v_fma_f16 v6, v43, s28, -v6
	v_add_f16_e32 v8, v8, v20
	v_add_f16_e32 v16, v15, v29
	v_mul_f16_e32 v15, 0xb8d2, v39
	v_fma_f16 v10, v43, s26, -v10
	v_add_f16_e32 v20, v19, v33
	v_mul_f16_e32 v19, 0x3722, v39
	v_add_f16_e32 v6, v6, v17
	v_fma_f16 v9, v42, s20, v9
	v_fma_f16 v17, v42, s27, v15
	v_add_f16_e32 v10, v10, v24
	v_fma_f16 v15, v42, s25, v15
	v_fma_f16 v21, v42, s8, v19
	v_mul_f16_sdwa v22, v42, s14 dst_sel:DWORD dst_unused:UNUSED_PAD src0_sel:WORD_1 src1_sel:DWORD
	v_mul_f16_e32 v24, 0xb461, v39
	v_add_f16_e32 v9, v9, v23
	v_add_f16_e32 v17, v17, v34
	;; [unrolled: 1-line block ×4, first 2 shown]
	v_fma_f16 v23, v43, s15, v22
	v_fma_f16 v25, v42, s21, v24
	v_pk_mul_f16 v27, v42, s7 op_sel_hi:[1,0]
	v_add_f16_e32 v23, v23, v37
	v_add_f16_e32 v25, v25, v41
	v_pk_fma_f16 v26, v39, s1, v27 op_sel_hi:[1,0,1]
	v_pk_fma_f16 v27, v39, s1, v27 op_sel_hi:[1,0,1] neg_lo:[0,0,1] neg_hi:[0,0,1]
	v_pack_b32_f16 v20, v20, v21
	v_pack_b32_f16 v16, v16, v17
	v_fma_f16 v18, v43, s9, -v18
	v_fma_f16 v19, v42, s10, v19
	v_fma_f16 v22, v43, s15, -v22
	v_fma_f16 v24, v42, s14, v24
	v_pk_add_f16 v26, v26, v36
	v_pk_add_f16 v27, v27, v38
	s_barrier
	ds_write2_b32 v14, v16, v20 offset0:5 offset1:6
	v_pack_b32_f16 v16, v23, v25
	v_add_f16_e32 v18, v18, v28
	v_add_f16_e32 v19, v19, v31
	;; [unrolled: 1-line block ×4, first 2 shown]
	ds_write2_b32 v14, v3, v16 offset1:7
	v_alignbit_b32 v3, v26, v27, 16
	v_alignbit_b32 v16, v27, v26, 16
	ds_write2_b32 v14, v16, v3 offset0:8 offset1:9
	v_pack_b32_f16 v3, v18, v19
	v_pack_b32_f16 v16, v22, v24
	ds_write2_b32 v14, v16, v3 offset0:10 offset1:11
	v_pack_b32_f16 v3, v8, v9
	v_pack_b32_f16 v8, v10, v15
	s_mul_i32 s10, s19, s0
	ds_write2_b32 v14, v8, v3 offset0:12 offset1:13
	v_pack_b32_f16 v5, v4, v5
	v_mad_u64_u32 v[3:4], s[0:1], s4, v12, 0
	v_pack_b32_f16 v0, v0, v1
	ds_write_b32 v14, v0 offset:64
	v_mov_b32_e32 v0, v4
	v_mad_u64_u32 v[0:1], s[0:1], s5, v12, v[0:1]
	s_lshl_b64 s[0:1], s[12:13], 2
	s_add_u32 s2, s2, s0
	v_mov_b32_e32 v4, v0
	s_addc_u32 s3, s3, s1
	s_lshl_b64 s[0:1], s[10:11], 2
	v_pack_b32_f16 v28, v46, v47
	v_pack_b32_f16 v29, v44, v45
	v_mul_lo_u32 v1, s6, v11
	s_add_u32 s0, s2, s0
	v_lshlrev_b64 v[3:4], 2, v[3:4]
	ds_write2_b32 v14, v29, v28 offset0:1 offset1:2
	v_pack_b32_f16 v28, v50, v30
	v_pack_b32_f16 v29, v48, v49
	;; [unrolled: 1-line block ×3, first 2 shown]
	v_lshlrev_b32_e32 v0, 2, v11
	s_addc_u32 s1, s3, s1
	ds_write2_b32 v14, v29, v28 offset0:3 offset1:4
	ds_write2_b32 v14, v6, v5 offset0:14 offset1:15
	v_add_u32_e32 v5, v14, v0
	v_mov_b32_e32 v6, s1
	v_add_co_u32_e32 v14, vcc, s0, v3
	s_waitcnt lgkmcnt(0)
	s_barrier
	v_addc_co_u32_e32 v15, vcc, v6, v4, vcc
	ds_read2_b32 v[5:6], v5 offset1:1
	v_lshlrev_b64 v[3:4], 2, v[1:2]
	v_add3_u32 v0, 0, v0, v13
	v_add_co_u32_e32 v3, vcc, v14, v3
	v_addc_co_u32_e32 v4, vcc, v15, v4, vcc
	v_add_u32_e32 v1, s6, v1
	ds_read2_b32 v[7:8], v0 offset0:2 offset1:3
	ds_read2_b32 v[9:10], v0 offset0:4 offset1:5
	;; [unrolled: 1-line block ×3, first 2 shown]
	s_waitcnt lgkmcnt(3)
	global_store_dword v[3:4], v5, off
	v_lshlrev_b64 v[3:4], 2, v[1:2]
	v_add_u32_e32 v1, s6, v1
	v_add_co_u32_e32 v3, vcc, v14, v3
	v_addc_co_u32_e32 v4, vcc, v15, v4, vcc
	global_store_dword v[3:4], v6, off
	v_lshlrev_b64 v[3:4], 2, v[1:2]
	v_add_u32_e32 v1, s6, v1
	v_add_co_u32_e32 v3, vcc, v14, v3
	v_addc_co_u32_e32 v4, vcc, v15, v4, vcc
	s_waitcnt lgkmcnt(2)
	global_store_dword v[3:4], v7, off
	v_lshlrev_b64 v[3:4], 2, v[1:2]
	v_add_u32_e32 v1, s6, v1
	v_add_co_u32_e32 v3, vcc, v14, v3
	v_addc_co_u32_e32 v4, vcc, v15, v4, vcc
	global_store_dword v[3:4], v8, off
	v_lshlrev_b64 v[3:4], 2, v[1:2]
	v_add_u32_e32 v1, s6, v1
	v_add_co_u32_e32 v3, vcc, v14, v3
	v_addc_co_u32_e32 v4, vcc, v15, v4, vcc
	;; [unrolled: 11-line block ×3, first 2 shown]
	s_waitcnt lgkmcnt(0)
	global_store_dword v[3:4], v11, off
	v_lshlrev_b64 v[3:4], 2, v[1:2]
	v_add_u32_e32 v1, s6, v1
	v_add_co_u32_e32 v3, vcc, v14, v3
	v_addc_co_u32_e32 v4, vcc, v15, v4, vcc
	global_store_dword v[3:4], v12, off
	ds_read2_b32 v[3:4], v0 offset0:8 offset1:9
	v_lshlrev_b64 v[5:6], 2, v[1:2]
	v_add_u32_e32 v1, s6, v1
	v_add_co_u32_e32 v5, vcc, v14, v5
	v_addc_co_u32_e32 v6, vcc, v15, v6, vcc
	ds_read2_b32 v[7:8], v0 offset0:10 offset1:11
	ds_read2_b32 v[9:10], v0 offset0:12 offset1:13
	;; [unrolled: 1-line block ×3, first 2 shown]
	s_waitcnt lgkmcnt(3)
	global_store_dword v[5:6], v3, off
	v_lshlrev_b64 v[5:6], 2, v[1:2]
	v_add_u32_e32 v1, s6, v1
	v_add_co_u32_e32 v5, vcc, v14, v5
	v_addc_co_u32_e32 v6, vcc, v15, v6, vcc
	global_store_dword v[5:6], v4, off
	v_lshlrev_b64 v[3:4], 2, v[1:2]
	v_add_u32_e32 v1, s6, v1
	v_add_co_u32_e32 v3, vcc, v14, v3
	v_addc_co_u32_e32 v4, vcc, v15, v4, vcc
	s_waitcnt lgkmcnt(2)
	global_store_dword v[3:4], v7, off
	v_lshlrev_b64 v[3:4], 2, v[1:2]
	v_add_u32_e32 v1, s6, v1
	v_add_co_u32_e32 v3, vcc, v14, v3
	v_addc_co_u32_e32 v4, vcc, v15, v4, vcc
	global_store_dword v[3:4], v8, off
	v_lshlrev_b64 v[3:4], 2, v[1:2]
	v_add_u32_e32 v1, s6, v1
	v_add_co_u32_e32 v3, vcc, v14, v3
	v_addc_co_u32_e32 v4, vcc, v15, v4, vcc
	;; [unrolled: 11-line block ×3, first 2 shown]
	s_waitcnt lgkmcnt(0)
	global_store_dword v[3:4], v11, off
	v_lshlrev_b64 v[3:4], 2, v[1:2]
	v_add_u32_e32 v1, s6, v1
	v_add_co_u32_e32 v3, vcc, v14, v3
	v_addc_co_u32_e32 v4, vcc, v15, v4, vcc
	global_store_dword v[3:4], v12, off
	ds_read_b32 v3, v0 offset:64
	v_lshlrev_b64 v[0:1], 2, v[1:2]
	v_add_co_u32_e32 v0, vcc, v14, v0
	v_addc_co_u32_e32 v1, vcc, v15, v1, vcc
	s_waitcnt lgkmcnt(0)
	global_store_dword v[0:1], v3, off
	s_endpgm
	.section	.rodata,"a",@progbits
	.p2align	6, 0x0
	.amdhsa_kernel fft_rtc_back_len17_factors_17_wgs_120_tpt_1_half_op_CI_CI_sbrc_xy_z_diag
		.amdhsa_group_segment_fixed_size 0
		.amdhsa_private_segment_fixed_size 0
		.amdhsa_kernarg_size 104
		.amdhsa_user_sgpr_count 6
		.amdhsa_user_sgpr_private_segment_buffer 1
		.amdhsa_user_sgpr_dispatch_ptr 0
		.amdhsa_user_sgpr_queue_ptr 0
		.amdhsa_user_sgpr_kernarg_segment_ptr 1
		.amdhsa_user_sgpr_dispatch_id 0
		.amdhsa_user_sgpr_flat_scratch_init 0
		.amdhsa_user_sgpr_private_segment_size 0
		.amdhsa_uses_dynamic_stack 0
		.amdhsa_system_sgpr_private_segment_wavefront_offset 0
		.amdhsa_system_sgpr_workgroup_id_x 1
		.amdhsa_system_sgpr_workgroup_id_y 0
		.amdhsa_system_sgpr_workgroup_id_z 0
		.amdhsa_system_sgpr_workgroup_info 0
		.amdhsa_system_vgpr_workitem_id 0
		.amdhsa_next_free_vgpr 55
		.amdhsa_next_free_sgpr 36
		.amdhsa_reserve_vcc 1
		.amdhsa_reserve_flat_scratch 0
		.amdhsa_float_round_mode_32 0
		.amdhsa_float_round_mode_16_64 0
		.amdhsa_float_denorm_mode_32 3
		.amdhsa_float_denorm_mode_16_64 3
		.amdhsa_dx10_clamp 1
		.amdhsa_ieee_mode 1
		.amdhsa_fp16_overflow 0
		.amdhsa_exception_fp_ieee_invalid_op 0
		.amdhsa_exception_fp_denorm_src 0
		.amdhsa_exception_fp_ieee_div_zero 0
		.amdhsa_exception_fp_ieee_overflow 0
		.amdhsa_exception_fp_ieee_underflow 0
		.amdhsa_exception_fp_ieee_inexact 0
		.amdhsa_exception_int_div_zero 0
	.end_amdhsa_kernel
	.text
.Lfunc_end0:
	.size	fft_rtc_back_len17_factors_17_wgs_120_tpt_1_half_op_CI_CI_sbrc_xy_z_diag, .Lfunc_end0-fft_rtc_back_len17_factors_17_wgs_120_tpt_1_half_op_CI_CI_sbrc_xy_z_diag
                                        ; -- End function
	.section	.AMDGPU.csdata,"",@progbits
; Kernel info:
; codeLenInByte = 7668
; NumSgprs: 40
; NumVgprs: 55
; ScratchSize: 0
; MemoryBound: 0
; FloatMode: 240
; IeeeMode: 1
; LDSByteSize: 0 bytes/workgroup (compile time only)
; SGPRBlocks: 4
; VGPRBlocks: 13
; NumSGPRsForWavesPerEU: 40
; NumVGPRsForWavesPerEU: 55
; Occupancy: 4
; WaveLimiterHint : 1
; COMPUTE_PGM_RSRC2:SCRATCH_EN: 0
; COMPUTE_PGM_RSRC2:USER_SGPR: 6
; COMPUTE_PGM_RSRC2:TRAP_HANDLER: 0
; COMPUTE_PGM_RSRC2:TGID_X_EN: 1
; COMPUTE_PGM_RSRC2:TGID_Y_EN: 0
; COMPUTE_PGM_RSRC2:TGID_Z_EN: 0
; COMPUTE_PGM_RSRC2:TIDIG_COMP_CNT: 0
	.type	__hip_cuid_50f33320ae34fa12,@object ; @__hip_cuid_50f33320ae34fa12
	.section	.bss,"aw",@nobits
	.globl	__hip_cuid_50f33320ae34fa12
__hip_cuid_50f33320ae34fa12:
	.byte	0                               ; 0x0
	.size	__hip_cuid_50f33320ae34fa12, 1

	.ident	"AMD clang version 19.0.0git (https://github.com/RadeonOpenCompute/llvm-project roc-6.4.0 25133 c7fe45cf4b819c5991fe208aaa96edf142730f1d)"
	.section	".note.GNU-stack","",@progbits
	.addrsig
	.addrsig_sym __hip_cuid_50f33320ae34fa12
	.amdgpu_metadata
---
amdhsa.kernels:
  - .args:
      - .actual_access:  read_only
        .address_space:  global
        .offset:         0
        .size:           8
        .value_kind:     global_buffer
      - .offset:         8
        .size:           8
        .value_kind:     by_value
      - .actual_access:  read_only
        .address_space:  global
        .offset:         16
        .size:           8
        .value_kind:     global_buffer
      - .actual_access:  read_only
        .address_space:  global
        .offset:         24
        .size:           8
        .value_kind:     global_buffer
      - .actual_access:  read_only
        .address_space:  global
        .offset:         32
        .size:           8
        .value_kind:     global_buffer
      - .offset:         40
        .size:           8
        .value_kind:     by_value
      - .actual_access:  read_only
        .address_space:  global
        .offset:         48
        .size:           8
        .value_kind:     global_buffer
      - .actual_access:  read_only
        .address_space:  global
        .offset:         56
        .size:           8
        .value_kind:     global_buffer
      - .offset:         64
        .size:           4
        .value_kind:     by_value
      - .actual_access:  read_only
        .address_space:  global
        .offset:         72
        .size:           8
        .value_kind:     global_buffer
      - .actual_access:  read_only
        .address_space:  global
        .offset:         80
        .size:           8
        .value_kind:     global_buffer
      - .actual_access:  read_only
        .address_space:  global
        .offset:         88
        .size:           8
        .value_kind:     global_buffer
      - .actual_access:  write_only
        .address_space:  global
        .offset:         96
        .size:           8
        .value_kind:     global_buffer
    .group_segment_fixed_size: 0
    .kernarg_segment_align: 8
    .kernarg_segment_size: 104
    .language:       OpenCL C
    .language_version:
      - 2
      - 0
    .max_flat_workgroup_size: 120
    .name:           fft_rtc_back_len17_factors_17_wgs_120_tpt_1_half_op_CI_CI_sbrc_xy_z_diag
    .private_segment_fixed_size: 0
    .sgpr_count:     40
    .sgpr_spill_count: 0
    .symbol:         fft_rtc_back_len17_factors_17_wgs_120_tpt_1_half_op_CI_CI_sbrc_xy_z_diag.kd
    .uniform_work_group_size: 1
    .uses_dynamic_stack: false
    .vgpr_count:     55
    .vgpr_spill_count: 0
    .wavefront_size: 64
amdhsa.target:   amdgcn-amd-amdhsa--gfx906
amdhsa.version:
  - 1
  - 2
...

	.end_amdgpu_metadata
